;; amdgpu-corpus repo=ROCm/rocFFT kind=compiled arch=gfx906 opt=O3
	.text
	.amdgcn_target "amdgcn-amd-amdhsa--gfx906"
	.amdhsa_code_object_version 6
	.protected	fft_rtc_fwd_len420_factors_10_7_6_wgs_60_tpt_60_half_ip_CI_unitstride_sbrr_R2C_dirReg ; -- Begin function fft_rtc_fwd_len420_factors_10_7_6_wgs_60_tpt_60_half_ip_CI_unitstride_sbrr_R2C_dirReg
	.globl	fft_rtc_fwd_len420_factors_10_7_6_wgs_60_tpt_60_half_ip_CI_unitstride_sbrr_R2C_dirReg
	.p2align	8
	.type	fft_rtc_fwd_len420_factors_10_7_6_wgs_60_tpt_60_half_ip_CI_unitstride_sbrr_R2C_dirReg,@function
fft_rtc_fwd_len420_factors_10_7_6_wgs_60_tpt_60_half_ip_CI_unitstride_sbrr_R2C_dirReg: ; @fft_rtc_fwd_len420_factors_10_7_6_wgs_60_tpt_60_half_ip_CI_unitstride_sbrr_R2C_dirReg
; %bb.0:
	s_load_dwordx2 s[2:3], s[4:5], 0x50
	s_load_dwordx4 s[8:11], s[4:5], 0x0
	s_load_dwordx2 s[12:13], s[4:5], 0x18
	v_mul_u32_u24_e32 v1, 0x445, v0
	v_add_u32_sdwa v5, s6, v1 dst_sel:DWORD dst_unused:UNUSED_PAD src0_sel:DWORD src1_sel:WORD_1
	v_mov_b32_e32 v3, 0
	s_waitcnt lgkmcnt(0)
	v_cmp_lt_u64_e64 s[0:1], s[10:11], 2
	v_mov_b32_e32 v1, 0
	v_mov_b32_e32 v6, v3
	s_and_b64 vcc, exec, s[0:1]
	v_mov_b32_e32 v2, 0
	s_cbranch_vccnz .LBB0_8
; %bb.1:
	s_load_dwordx2 s[0:1], s[4:5], 0x10
	s_add_u32 s6, s12, 8
	s_addc_u32 s7, s13, 0
	v_mov_b32_e32 v1, 0
	v_mov_b32_e32 v2, 0
	s_waitcnt lgkmcnt(0)
	s_add_u32 s14, s0, 8
	s_addc_u32 s15, s1, 0
	s_mov_b64 s[16:17], 1
.LBB0_2:                                ; =>This Inner Loop Header: Depth=1
	s_load_dwordx2 s[18:19], s[14:15], 0x0
                                        ; implicit-def: $vgpr7_vgpr8
	s_waitcnt lgkmcnt(0)
	v_or_b32_e32 v4, s19, v6
	v_cmp_ne_u64_e32 vcc, 0, v[3:4]
	s_and_saveexec_b64 s[0:1], vcc
	s_xor_b64 s[20:21], exec, s[0:1]
	s_cbranch_execz .LBB0_4
; %bb.3:                                ;   in Loop: Header=BB0_2 Depth=1
	v_cvt_f32_u32_e32 v4, s18
	v_cvt_f32_u32_e32 v7, s19
	s_sub_u32 s0, 0, s18
	s_subb_u32 s1, 0, s19
	v_mac_f32_e32 v4, 0x4f800000, v7
	v_rcp_f32_e32 v4, v4
	v_mul_f32_e32 v4, 0x5f7ffffc, v4
	v_mul_f32_e32 v7, 0x2f800000, v4
	v_trunc_f32_e32 v7, v7
	v_mac_f32_e32 v4, 0xcf800000, v7
	v_cvt_u32_f32_e32 v7, v7
	v_cvt_u32_f32_e32 v4, v4
	v_mul_lo_u32 v8, s0, v7
	v_mul_hi_u32 v9, s0, v4
	v_mul_lo_u32 v11, s1, v4
	v_mul_lo_u32 v10, s0, v4
	v_add_u32_e32 v8, v9, v8
	v_add_u32_e32 v8, v8, v11
	v_mul_hi_u32 v9, v4, v10
	v_mul_lo_u32 v11, v4, v8
	v_mul_hi_u32 v13, v4, v8
	v_mul_hi_u32 v12, v7, v10
	v_mul_lo_u32 v10, v7, v10
	v_mul_hi_u32 v14, v7, v8
	v_add_co_u32_e32 v9, vcc, v9, v11
	v_addc_co_u32_e32 v11, vcc, 0, v13, vcc
	v_mul_lo_u32 v8, v7, v8
	v_add_co_u32_e32 v9, vcc, v9, v10
	v_addc_co_u32_e32 v9, vcc, v11, v12, vcc
	v_addc_co_u32_e32 v10, vcc, 0, v14, vcc
	v_add_co_u32_e32 v8, vcc, v9, v8
	v_addc_co_u32_e32 v9, vcc, 0, v10, vcc
	v_add_co_u32_e32 v4, vcc, v4, v8
	v_addc_co_u32_e32 v7, vcc, v7, v9, vcc
	v_mul_lo_u32 v8, s0, v7
	v_mul_hi_u32 v9, s0, v4
	v_mul_lo_u32 v10, s1, v4
	v_mul_lo_u32 v11, s0, v4
	v_add_u32_e32 v8, v9, v8
	v_add_u32_e32 v8, v8, v10
	v_mul_lo_u32 v12, v4, v8
	v_mul_hi_u32 v13, v4, v11
	v_mul_hi_u32 v14, v4, v8
	;; [unrolled: 1-line block ×3, first 2 shown]
	v_mul_lo_u32 v11, v7, v11
	v_mul_hi_u32 v9, v7, v8
	v_add_co_u32_e32 v12, vcc, v13, v12
	v_addc_co_u32_e32 v13, vcc, 0, v14, vcc
	v_mul_lo_u32 v8, v7, v8
	v_add_co_u32_e32 v11, vcc, v12, v11
	v_addc_co_u32_e32 v10, vcc, v13, v10, vcc
	v_addc_co_u32_e32 v9, vcc, 0, v9, vcc
	v_add_co_u32_e32 v8, vcc, v10, v8
	v_addc_co_u32_e32 v9, vcc, 0, v9, vcc
	v_add_co_u32_e32 v4, vcc, v4, v8
	v_addc_co_u32_e32 v9, vcc, v7, v9, vcc
	v_mad_u64_u32 v[7:8], s[0:1], v5, v9, 0
	v_mul_hi_u32 v10, v5, v4
	v_add_co_u32_e32 v11, vcc, v10, v7
	v_addc_co_u32_e32 v12, vcc, 0, v8, vcc
	v_mad_u64_u32 v[7:8], s[0:1], v6, v4, 0
	v_mad_u64_u32 v[9:10], s[0:1], v6, v9, 0
	v_add_co_u32_e32 v4, vcc, v11, v7
	v_addc_co_u32_e32 v4, vcc, v12, v8, vcc
	v_addc_co_u32_e32 v7, vcc, 0, v10, vcc
	v_add_co_u32_e32 v4, vcc, v4, v9
	v_addc_co_u32_e32 v9, vcc, 0, v7, vcc
	v_mul_lo_u32 v10, s19, v4
	v_mul_lo_u32 v11, s18, v9
	v_mad_u64_u32 v[7:8], s[0:1], s18, v4, 0
	v_add3_u32 v8, v8, v11, v10
	v_sub_u32_e32 v10, v6, v8
	v_mov_b32_e32 v11, s19
	v_sub_co_u32_e32 v7, vcc, v5, v7
	v_subb_co_u32_e64 v10, s[0:1], v10, v11, vcc
	v_subrev_co_u32_e64 v11, s[0:1], s18, v7
	v_subbrev_co_u32_e64 v10, s[0:1], 0, v10, s[0:1]
	v_cmp_le_u32_e64 s[0:1], s19, v10
	v_cndmask_b32_e64 v12, 0, -1, s[0:1]
	v_cmp_le_u32_e64 s[0:1], s18, v11
	v_cndmask_b32_e64 v11, 0, -1, s[0:1]
	v_cmp_eq_u32_e64 s[0:1], s19, v10
	v_cndmask_b32_e64 v10, v12, v11, s[0:1]
	v_add_co_u32_e64 v11, s[0:1], 2, v4
	v_addc_co_u32_e64 v12, s[0:1], 0, v9, s[0:1]
	v_add_co_u32_e64 v13, s[0:1], 1, v4
	v_addc_co_u32_e64 v14, s[0:1], 0, v9, s[0:1]
	v_subb_co_u32_e32 v8, vcc, v6, v8, vcc
	v_cmp_ne_u32_e64 s[0:1], 0, v10
	v_cmp_le_u32_e32 vcc, s19, v8
	v_cndmask_b32_e64 v10, v14, v12, s[0:1]
	v_cndmask_b32_e64 v12, 0, -1, vcc
	v_cmp_le_u32_e32 vcc, s18, v7
	v_cndmask_b32_e64 v7, 0, -1, vcc
	v_cmp_eq_u32_e32 vcc, s19, v8
	v_cndmask_b32_e32 v7, v12, v7, vcc
	v_cmp_ne_u32_e32 vcc, 0, v7
	v_cndmask_b32_e64 v7, v13, v11, s[0:1]
	v_cndmask_b32_e32 v8, v9, v10, vcc
	v_cndmask_b32_e32 v7, v4, v7, vcc
.LBB0_4:                                ;   in Loop: Header=BB0_2 Depth=1
	s_andn2_saveexec_b64 s[0:1], s[20:21]
	s_cbranch_execz .LBB0_6
; %bb.5:                                ;   in Loop: Header=BB0_2 Depth=1
	v_cvt_f32_u32_e32 v4, s18
	s_sub_i32 s20, 0, s18
	v_rcp_iflag_f32_e32 v4, v4
	v_mul_f32_e32 v4, 0x4f7ffffe, v4
	v_cvt_u32_f32_e32 v4, v4
	v_mul_lo_u32 v7, s20, v4
	v_mul_hi_u32 v7, v4, v7
	v_add_u32_e32 v4, v4, v7
	v_mul_hi_u32 v4, v5, v4
	v_mul_lo_u32 v7, v4, s18
	v_add_u32_e32 v8, 1, v4
	v_sub_u32_e32 v7, v5, v7
	v_subrev_u32_e32 v9, s18, v7
	v_cmp_le_u32_e32 vcc, s18, v7
	v_cndmask_b32_e32 v7, v7, v9, vcc
	v_cndmask_b32_e32 v4, v4, v8, vcc
	v_add_u32_e32 v8, 1, v4
	v_cmp_le_u32_e32 vcc, s18, v7
	v_cndmask_b32_e32 v7, v4, v8, vcc
	v_mov_b32_e32 v8, v3
.LBB0_6:                                ;   in Loop: Header=BB0_2 Depth=1
	s_or_b64 exec, exec, s[0:1]
	v_mul_lo_u32 v4, v8, s18
	v_mul_lo_u32 v11, v7, s19
	v_mad_u64_u32 v[9:10], s[0:1], v7, s18, 0
	s_load_dwordx2 s[0:1], s[6:7], 0x0
	s_add_u32 s16, s16, 1
	v_add3_u32 v4, v10, v11, v4
	v_sub_co_u32_e32 v5, vcc, v5, v9
	v_subb_co_u32_e32 v4, vcc, v6, v4, vcc
	s_waitcnt lgkmcnt(0)
	v_mul_lo_u32 v4, s0, v4
	v_mul_lo_u32 v6, s1, v5
	v_mad_u64_u32 v[1:2], s[0:1], s0, v5, v[1:2]
	s_addc_u32 s17, s17, 0
	s_add_u32 s6, s6, 8
	v_add3_u32 v2, v6, v2, v4
	v_mov_b32_e32 v4, s10
	v_mov_b32_e32 v5, s11
	s_addc_u32 s7, s7, 0
	v_cmp_ge_u64_e32 vcc, s[16:17], v[4:5]
	s_add_u32 s14, s14, 8
	s_addc_u32 s15, s15, 0
	s_cbranch_vccnz .LBB0_9
; %bb.7:                                ;   in Loop: Header=BB0_2 Depth=1
	v_mov_b32_e32 v5, v7
	v_mov_b32_e32 v6, v8
	s_branch .LBB0_2
.LBB0_8:
	v_mov_b32_e32 v8, v6
	v_mov_b32_e32 v7, v5
.LBB0_9:
	s_lshl_b64 s[0:1], s[10:11], 3
	s_add_u32 s0, s12, s0
	s_addc_u32 s1, s13, s1
	s_load_dwordx2 s[6:7], s[0:1], 0x0
	s_load_dwordx2 s[10:11], s[4:5], 0x20
	s_waitcnt lgkmcnt(0)
	v_mad_u64_u32 v[1:2], s[0:1], s6, v7, v[1:2]
	s_mov_b32 s0, 0x4444445
	v_mul_lo_u32 v3, s6, v8
	v_mul_lo_u32 v4, s7, v7
	v_mul_hi_u32 v5, v0, s0
	v_cmp_gt_u64_e32 vcc, s[10:11], v[7:8]
	v_add3_u32 v2, v4, v2, v3
	v_mul_u32_u24_e32 v3, 60, v5
	v_sub_u32_e32 v0, v0, v3
	v_lshlrev_b64 v[2:3], 2, v[1:2]
	v_lshl_add_u32 v18, v0, 2, 0
	s_and_saveexec_b64 s[4:5], vcc
	s_cbranch_execz .LBB0_11
; %bb.10:
	v_mov_b32_e32 v1, 0
	v_mov_b32_e32 v4, s3
	v_add_co_u32_e64 v6, s[0:1], s2, v2
	v_addc_co_u32_e64 v7, s[0:1], v4, v3, s[0:1]
	v_lshlrev_b64 v[4:5], 2, v[0:1]
	v_add_co_u32_e64 v4, s[0:1], v6, v4
	v_addc_co_u32_e64 v5, s[0:1], v7, v5, s[0:1]
	global_load_dword v1, v[4:5], off
	global_load_dword v6, v[4:5], off offset:240
	global_load_dword v7, v[4:5], off offset:480
	;; [unrolled: 1-line block ×6, first 2 shown]
	v_add_u32_e32 v4, 0x200, v18
	s_waitcnt vmcnt(5)
	ds_write2_b32 v18, v1, v6 offset1:60
	s_waitcnt vmcnt(3)
	ds_write2_b32 v18, v7, v8 offset0:120 offset1:180
	s_waitcnt vmcnt(1)
	ds_write2_b32 v4, v9, v10 offset0:112 offset1:172
	s_waitcnt vmcnt(0)
	ds_write_b32 v18, v11 offset:1440
.LBB0_11:
	s_or_b64 exec, exec, s[4:5]
	v_add_u32_e32 v21, 0x400, v18
	s_waitcnt lgkmcnt(0)
	; wave barrier
	s_waitcnt lgkmcnt(0)
	ds_read2_b32 v[14:15], v18 offset0:84 offset1:126
	ds_read2_b32 v[8:9], v18 offset0:168 offset1:210
	;; [unrolled: 1-line block ×3, first 2 shown]
	v_add_u32_e32 v4, 0x200, v18
	ds_read2_b32 v[12:13], v4 offset0:124 offset1:166
	ds_read2_b32 v[16:17], v18 offset1:42
	s_movk_i32 s0, 0x3b9c
	s_waitcnt lgkmcnt(3)
	v_sub_f16_e32 v5, v14, v8
	s_mov_b32 s4, 0xbb9c
	s_waitcnt lgkmcnt(1)
	v_sub_f16_e32 v1, v10, v12
	v_add_f16_e32 v26, v5, v1
	v_sub_f16_e32 v1, v12, v10
	v_sub_f16_e32 v5, v8, v14
	v_add_f16_e32 v1, v5, v1
	v_add_f16_e32 v5, v14, v10
	v_sub_f16_sdwa v25, v8, v12 dst_sel:DWORD dst_unused:UNUSED_PAD src0_sel:WORD_1 src1_sel:WORD_1
	s_waitcnt lgkmcnt(0)
	v_fma_f16 v5, v5, -0.5, v16
	v_sub_f16_sdwa v24, v14, v10 dst_sel:DWORD dst_unused:UNUSED_PAD src0_sel:WORD_1 src1_sel:WORD_1
	s_movk_i32 s6, 0x38b4
	s_mov_b32 s5, 0xb8b4
	v_fma_f16 v6, v25, s4, v5
	v_fma_f16 v5, v25, s0, v5
	s_movk_i32 s1, 0x34f2
	v_fma_f16 v6, v24, s6, v6
	v_fma_f16 v5, v24, s5, v5
	;; [unrolled: 1-line block ×4, first 2 shown]
	v_sub_f16_sdwa v1, v14, v8 dst_sel:DWORD dst_unused:UNUSED_PAD src0_sel:WORD_1 src1_sel:WORD_1
	v_sub_f16_sdwa v5, v10, v12 dst_sel:DWORD dst_unused:UNUSED_PAD src0_sel:WORD_1 src1_sel:WORD_1
	v_add_f16_e32 v30, v1, v5
	v_add_f16_sdwa v1, v8, v12 dst_sel:DWORD dst_unused:UNUSED_PAD src0_sel:WORD_1 src1_sel:WORD_1
	v_lshrrev_b32_e32 v5, 16, v16
	v_fma_f16 v29, v1, -0.5, v5
	v_add_f16_sdwa v1, v14, v10 dst_sel:DWORD dst_unused:UNUSED_PAD src0_sel:WORD_1 src1_sel:WORD_1
	v_fma_f16 v1, v1, -0.5, v5
	v_sub_f16_sdwa v5, v8, v14 dst_sel:DWORD dst_unused:UNUSED_PAD src0_sel:WORD_1 src1_sel:WORD_1
	v_sub_f16_sdwa v6, v12, v10 dst_sel:DWORD dst_unused:UNUSED_PAD src0_sel:WORD_1 src1_sel:WORD_1
	v_sub_f16_e32 v32, v8, v12
	v_add_f16_e32 v5, v5, v6
	v_sub_f16_e32 v31, v14, v10
	v_fma_f16 v6, v32, s0, v1
	v_fma_f16 v1, v32, s4, v1
	;; [unrolled: 1-line block ×6, first 2 shown]
	v_sub_f16_e32 v1, v11, v13
	v_sub_f16_e32 v5, v15, v9
	v_add_f16_e32 v33, v5, v1
	v_sub_f16_e32 v1, v13, v11
	v_sub_f16_e32 v5, v9, v15
	v_add_f16_e32 v1, v5, v1
	v_add_f16_e32 v5, v15, v11
	v_fma_f16 v5, v5, -0.5, v17
	v_sub_f16_sdwa v35, v9, v13 dst_sel:DWORD dst_unused:UNUSED_PAD src0_sel:WORD_1 src1_sel:WORD_1
	v_sub_f16_sdwa v34, v15, v11 dst_sel:DWORD dst_unused:UNUSED_PAD src0_sel:WORD_1 src1_sel:WORD_1
	v_fma_f16 v6, v35, s4, v5
	v_fma_f16 v5, v35, s0, v5
	v_fma_f16 v6, v34, s6, v6
	v_fma_f16 v5, v34, s5, v5
	v_fma_f16 v6, v1, s1, v6
	v_fma_f16 v1, v1, s1, v5
	v_sub_f16_sdwa v5, v15, v9 dst_sel:DWORD dst_unused:UNUSED_PAD src0_sel:WORD_1 src1_sel:WORD_1
	v_sub_f16_sdwa v7, v11, v13 dst_sel:DWORD dst_unused:UNUSED_PAD src0_sel:WORD_1 src1_sel:WORD_1
	v_add_f16_e32 v38, v5, v7
	v_add_f16_sdwa v5, v9, v13 dst_sel:DWORD dst_unused:UNUSED_PAD src0_sel:WORD_1 src1_sel:WORD_1
	v_lshrrev_b32_e32 v7, 16, v17
	v_fma_f16 v37, v5, -0.5, v7
	v_add_f16_sdwa v5, v15, v11 dst_sel:DWORD dst_unused:UNUSED_PAD src0_sel:WORD_1 src1_sel:WORD_1
	v_fma_f16 v5, v5, -0.5, v7
	v_sub_f16_sdwa v7, v9, v15 dst_sel:DWORD dst_unused:UNUSED_PAD src0_sel:WORD_1 src1_sel:WORD_1
	v_sub_f16_sdwa v19, v13, v11 dst_sel:DWORD dst_unused:UNUSED_PAD src0_sel:WORD_1 src1_sel:WORD_1
	v_sub_f16_e32 v43, v9, v13
	v_add_f16_e32 v7, v7, v19
	v_sub_f16_e32 v42, v15, v11
	v_fma_f16 v19, v43, s0, v5
	v_fma_f16 v19, v42, s5, v19
	;; [unrolled: 1-line block ×6, first 2 shown]
	v_mul_f16_e32 v7, 0x3b9c, v19
	v_fma_f16 v36, v6, s1, v7
	v_mul_f16_e32 v6, 0xbb9c, v6
	v_fma_f16 v40, v19, s1, v6
	v_mul_f16_e32 v6, 0x34f2, v1
	v_fma_f16 v39, v5, s0, -v6
	v_mul_f16_e32 v5, 0x34f2, v5
	v_fma_f16 v41, v1, s4, -v5
	v_add_f16_e32 v1, v9, v13
	v_fma_f16 v47, v1, -0.5, v17
	v_fma_f16 v1, v34, s4, v47
	v_fma_f16 v1, v35, s5, v1
	v_fma_f16 v5, v42, s0, v37
	v_fma_f16 v1, v33, s1, v1
	v_fma_f16 v5, v43, s6, v5
	v_fma_f16 v5, v38, s1, v5
	v_mul_f16_e32 v6, 0x3a79, v1
	v_fma_f16 v44, v5, s6, -v6
	v_mul_f16_e32 v5, 0x3a79, v5
	v_fma_f16 v45, v1, s5, -v5
	v_add_f16_e32 v1, v8, v12
	v_fma_f16 v48, v1, -0.5, v16
	v_fma_f16 v1, v24, s4, v48
	v_fma_f16 v1, v25, s5, v1
	;; [unrolled: 1-line block ×6, first 2 shown]
	s_movk_i32 s7, 0x3a79
	v_sub_f16_e32 v6, v23, v39
	v_sub_f16_e32 v7, v46, v44
	v_cmp_gt_u32_e64 s[0:1], 42, v0
	v_sub_f16_e32 v19, v27, v40
	v_sub_f16_e32 v20, v28, v41
	;; [unrolled: 1-line block ×4, first 2 shown]
	s_waitcnt lgkmcnt(0)
	; wave barrier
	s_and_saveexec_b64 s[4:5], s[0:1]
	s_cbranch_execz .LBB0_13
; %bb.12:
	v_mul_f16_e32 v31, 0x3b9c, v31
	v_mul_f16_e32 v32, 0x38b4, v32
	;; [unrolled: 1-line block ×3, first 2 shown]
	v_sub_f16_e32 v29, v29, v31
	v_mul_f16_e32 v30, 0x34f2, v30
	v_mul_f16_e32 v35, 0x38b4, v35
	;; [unrolled: 1-line block ×3, first 2 shown]
	v_sub_f16_e32 v29, v29, v32
	v_add_f16_e32 v31, v47, v34
	v_mul_f16_e32 v33, 0x34f2, v33
	v_mul_f16_e32 v43, 0x38b4, v43
	v_add_f16_e32 v29, v30, v29
	v_sub_f16_e32 v30, v37, v42
	v_add_f16_e32 v31, v35, v31
	v_mul_f16_e32 v24, 0x3b9c, v24
	v_mul_f16_e32 v38, 0x34f2, v38
	v_sub_f16_e32 v30, v30, v43
	v_add_f16_e32 v31, v33, v31
	v_pk_add_f16 v14, v16, v14
	v_pk_add_f16 v15, v17, v15
	v_mul_f16_e32 v25, 0x38b4, v25
	v_add_f16_e32 v30, v38, v30
	v_mul_f16_e32 v32, 0x38b4, v31
	v_add_f16_e32 v16, v48, v24
	v_pk_add_f16 v8, v14, v8
	v_pk_add_f16 v9, v15, v9
	v_mul_f16_e32 v26, 0x34f2, v26
	v_fma_f16 v32, v30, s7, -v32
	v_add_f16_e32 v16, v25, v16
	v_mul_f16_e32 v17, 0x3a79, v31
	v_pk_add_f16 v8, v8, v12
	v_pk_add_f16 v9, v9, v13
	v_sub_f16_e32 v33, v29, v32
	v_add_f16_e32 v16, v26, v16
	v_fma_f16 v17, v30, s6, v17
	v_add_f16_e32 v25, v49, v45
	v_add_f16_e32 v26, v28, v41
	;; [unrolled: 1-line block ×4, first 2 shown]
	v_pk_add_f16 v8, v8, v10
	v_pk_add_f16 v9, v9, v11
	v_sub_f16_e32 v24, v16, v17
	v_add_f16_e32 v16, v16, v17
	v_mad_u32_u24 v17, v0, 36, v18
	v_pk_add_f16 v10, v8, v9
	v_pk_add_f16 v8, v8, v9 neg_lo:[0,1] neg_hi:[0,1]
	v_pack_b32_f16 v9, v29, v25
	s_mov_b32 s0, 0x5040100
	v_add_f16_e32 v27, v27, v40
	v_add_f16_e32 v23, v23, v39
	;; [unrolled: 1-line block ×3, first 2 shown]
	v_pack_b32_f16 v11, v16, v28
	ds_write2_b32 v17, v9, v8 offset0:4 offset1:5
	v_pack_b32_f16 v8, v24, v33
	v_perm_b32 v9, v19, v5, s0
	ds_write2_b32 v17, v10, v11 offset1:1
	v_pack_b32_f16 v10, v23, v26
	v_pack_b32_f16 v11, v22, v27
	ds_write2_b32 v17, v8, v9 offset0:6 offset1:7
	v_perm_b32 v8, v1, v7, s0
	v_perm_b32 v9, v20, v6, s0
	ds_write2_b32 v17, v11, v10 offset0:2 offset1:3
	ds_write2_b32 v17, v9, v8 offset0:8 offset1:9
.LBB0_13:
	s_or_b64 exec, exec, s[4:5]
	s_movk_i32 s0, 0xcd
	v_mul_lo_u16_sdwa v8, v0, s0 dst_sel:DWORD dst_unused:UNUSED_PAD src0_sel:BYTE_0 src1_sel:DWORD
	v_lshrrev_b16_e32 v24, 11, v8
	v_mul_lo_u16_e32 v8, 10, v24
	v_sub_u16_e32 v25, v0, v8
	v_mov_b32_e32 v8, 6
	v_mul_u32_u24_sdwa v8, v25, v8 dst_sel:DWORD dst_unused:UNUSED_PAD src0_sel:BYTE_0 src1_sel:DWORD
	v_lshlrev_b32_e32 v14, 2, v8
	s_waitcnt lgkmcnt(0)
	; wave barrier
	s_waitcnt lgkmcnt(0)
	global_load_dwordx4 v[8:11], v14, s[8:9]
	global_load_dwordx2 v[12:13], v14, s[8:9] offset:16
	ds_read2_b32 v[14:15], v18 offset1:60
	ds_read2_b32 v[16:17], v18 offset0:120 offset1:180
	ds_read2_b32 v[22:23], v4 offset0:112 offset1:172
	ds_read_b32 v4, v18 offset:1440
	s_movk_i32 s0, 0x2b26
	s_waitcnt lgkmcnt(3)
	v_lshrrev_b32_e32 v26, 16, v15
	s_waitcnt lgkmcnt(2)
	v_lshrrev_b32_e32 v27, 16, v16
	v_lshrrev_b32_e32 v28, 16, v17
	s_waitcnt lgkmcnt(1)
	v_lshrrev_b32_e32 v29, 16, v22
	;; [unrolled: 3-line block ×3, first 2 shown]
	s_movk_i32 s1, 0x3b00
	s_mov_b32 s4, 0xbcab
	s_waitcnt lgkmcnt(0)
	; wave barrier
	s_waitcnt vmcnt(1)
	v_mul_f16_sdwa v32, v8, v26 dst_sel:DWORD dst_unused:UNUSED_PAD src0_sel:WORD_1 src1_sel:DWORD
	v_mul_f16_sdwa v33, v8, v15 dst_sel:DWORD dst_unused:UNUSED_PAD src0_sel:WORD_1 src1_sel:DWORD
	;; [unrolled: 1-line block ×8, first 2 shown]
	s_waitcnt vmcnt(0)
	v_mul_f16_sdwa v40, v12, v30 dst_sel:DWORD dst_unused:UNUSED_PAD src0_sel:WORD_1 src1_sel:DWORD
	v_mul_f16_sdwa v41, v12, v23 dst_sel:DWORD dst_unused:UNUSED_PAD src0_sel:WORD_1 src1_sel:DWORD
	;; [unrolled: 1-line block ×4, first 2 shown]
	v_fma_f16 v15, v8, v15, -v32
	v_fma_f16 v8, v8, v26, v33
	v_fma_f16 v16, v9, v16, -v34
	v_fma_f16 v9, v9, v27, v35
	;; [unrolled: 2-line block ×6, first 2 shown]
	v_add_f16_e32 v26, v15, v4
	v_add_f16_e32 v27, v8, v13
	v_sub_f16_e32 v4, v15, v4
	v_sub_f16_e32 v8, v8, v13
	v_add_f16_e32 v13, v16, v23
	v_add_f16_e32 v15, v9, v12
	v_sub_f16_e32 v16, v16, v23
	v_sub_f16_e32 v9, v9, v12
	;; [unrolled: 4-line block ×4, first 2 shown]
	v_sub_f16_e32 v26, v26, v12
	v_sub_f16_e32 v27, v27, v23
	;; [unrolled: 1-line block ×4, first 2 shown]
	v_add_f16_e32 v11, v12, v11
	v_add_f16_e32 v12, v23, v22
	v_mul_f16_e32 v22, 0x3a52, v26
	v_mul_f16_e32 v23, 0x3a52, v27
	;; [unrolled: 1-line block ×4, first 2 shown]
	v_fma_f16 v13, v13, s0, v22
	v_fma_f16 v15, v15, s0, v23
	s_movk_i32 s0, 0x39e0
	v_add_f16_e32 v30, v17, v16
	v_add_f16_e32 v31, v10, v9
	v_sub_f16_e32 v32, v17, v16
	v_sub_f16_e32 v33, v10, v9
	v_fma_f16 v26, v28, s0, -v26
	v_fma_f16 v27, v29, s0, -v27
	s_mov_b32 s0, 0xb9e0
	v_sub_f16_e32 v17, v4, v17
	v_sub_f16_e32 v10, v8, v10
	v_sub_f16_e32 v16, v16, v4
	v_sub_f16_e32 v9, v9, v8
	v_add_f16_e32 v4, v30, v4
	v_add_f16_e32 v8, v31, v8
	v_mul_f16_e32 v30, 0xb846, v32
	v_mul_f16_e32 v31, 0xb846, v33
	v_fma_f16 v22, v28, s0, -v22
	v_fma_f16 v23, v29, s0, -v23
	s_movk_i32 s0, 0x3574
	v_mul_f16_e32 v32, 0x3b00, v16
	v_mul_f16_e32 v33, 0x3b00, v9
	v_add_f16_e32 v34, v11, v14
	v_add_f16_sdwa v14, v12, v14 dst_sel:DWORD dst_unused:UNUSED_PAD src0_sel:DWORD src1_sel:WORD_1
	v_fma_f16 v28, v17, s0, v30
	v_fma_f16 v29, v10, s0, v31
	s_mov_b32 s0, 0xb574
	v_fma_f16 v11, v11, s4, v34
	v_fma_f16 v12, v12, s4, v14
	v_fma_f16 v16, v16, s1, -v30
	v_fma_f16 v9, v9, s1, -v31
	v_fma_f16 v17, v17, s0, -v32
	v_fma_f16 v10, v10, s0, -v33
	s_movk_i32 s0, 0x370e
	v_add_f16_e32 v13, v13, v11
	v_add_f16_e32 v15, v15, v12
	;; [unrolled: 1-line block ×6, first 2 shown]
	v_fma_f16 v22, v4, s0, v28
	v_fma_f16 v23, v8, s0, v29
	;; [unrolled: 1-line block ×6, first 2 shown]
	v_add_f16_e32 v10, v23, v13
	v_add_f16_e32 v28, v8, v11
	v_sub_f16_e32 v29, v12, v4
	v_sub_f16_e32 v8, v11, v8
	v_add_f16_e32 v11, v4, v12
	v_sub_f16_e32 v4, v13, v23
	v_mov_b32_e32 v13, 2
	v_sub_f16_e32 v17, v15, v22
	v_sub_f16_e32 v30, v26, v9
	v_add_f16_e32 v9, v9, v26
	v_sub_f16_e32 v26, v27, v16
	v_mul_u32_u24_e32 v12, 0x118, v24
	v_lshlrev_b32_sdwa v13, v13, v25 dst_sel:DWORD dst_unused:UNUSED_PAD src0_sel:DWORD src1_sel:BYTE_0
	v_add_f16_e32 v31, v16, v27
	v_add_f16_e32 v16, v22, v15
	v_add3_u32 v12, 0, v12, v13
	v_pack_b32_f16 v13, v34, v14
	v_pack_b32_f16 v10, v10, v17
	;; [unrolled: 1-line block ×4, first 2 shown]
	ds_write2_b32 v12, v13, v10 offset1:10
	v_pack_b32_f16 v10, v28, v29
	v_pack_b32_f16 v13, v30, v31
	ds_write2_b32 v12, v9, v8 offset0:40 offset1:50
	v_pack_b32_f16 v8, v4, v16
	ds_write2_b32 v12, v10, v13 offset0:20 offset1:30
	ds_write_b32 v12, v8 offset:240
	s_waitcnt lgkmcnt(0)
	; wave barrier
	s_waitcnt lgkmcnt(0)
	ds_read2_b32 v[10:11], v18 offset1:70
	ds_read2_b32 v[14:15], v18 offset0:140 offset1:210
	ds_read2_b32 v[12:13], v21 offset0:24 offset1:94
	v_cmp_gt_u32_e64 s[0:1], 10, v0
                                        ; implicit-def: $vgpr17
                                        ; implicit-def: $vgpr9
                                        ; implicit-def: $vgpr21
	s_and_saveexec_b64 s[4:5], s[0:1]
	s_cbranch_execz .LBB0_15
; %bb.14:
	v_add_u32_e32 v1, 0x200, v18
	ds_read2_b32 v[6:7], v1 offset0:72 offset1:142
	v_add_u32_e32 v1, 0x400, v18
	ds_read2_b32 v[4:5], v18 offset0:60 offset1:130
	ds_read2_b32 v[8:9], v1 offset0:84 offset1:154
	s_waitcnt lgkmcnt(2)
	v_lshrrev_b32_e32 v1, 16, v7
	v_lshrrev_b32_e32 v20, 16, v6
	s_waitcnt lgkmcnt(1)
	v_lshrrev_b32_e32 v16, 16, v4
	s_waitcnt lgkmcnt(0)
	v_lshrrev_b32_e32 v21, 16, v8
	v_lshrrev_b32_e32 v17, 16, v9
	;; [unrolled: 1-line block ×3, first 2 shown]
.LBB0_15:
	s_or_b64 exec, exec, s[4:5]
	v_mul_u32_u24_e32 v22, 5, v0
	v_lshlrev_b32_e32 v22, 2, v22
	global_load_dwordx4 v[23:26], v22, s[8:9] offset:240
	global_load_dword v27, v22, s[8:9] offset:256
	s_waitcnt lgkmcnt(0)
	v_lshrrev_b32_e32 v29, 16, v13
	v_lshrrev_b32_e32 v30, 16, v12
	;; [unrolled: 1-line block ×6, first 2 shown]
	s_movk_i32 s6, 0x3aee
	s_mov_b32 s7, 0xbaee
	v_add_u32_e32 v22, 0x400, v18
	s_waitcnt lgkmcnt(0)
	; wave barrier
	s_waitcnt vmcnt(1)
	v_mul_f16_sdwa v34, v23, v33 dst_sel:DWORD dst_unused:UNUSED_PAD src0_sel:WORD_1 src1_sel:DWORD
	v_mul_f16_sdwa v35, v23, v11 dst_sel:DWORD dst_unused:UNUSED_PAD src0_sel:WORD_1 src1_sel:DWORD
	;; [unrolled: 1-line block ×8, first 2 shown]
	s_waitcnt vmcnt(0)
	v_mul_f16_sdwa v42, v27, v29 dst_sel:DWORD dst_unused:UNUSED_PAD src0_sel:WORD_1 src1_sel:DWORD
	v_mul_f16_sdwa v43, v27, v13 dst_sel:DWORD dst_unused:UNUSED_PAD src0_sel:WORD_1 src1_sel:DWORD
	v_fma_f16 v11, v23, v11, -v34
	v_fma_f16 v23, v23, v33, v35
	v_fma_f16 v14, v24, v14, -v36
	v_fma_f16 v24, v24, v32, v37
	;; [unrolled: 2-line block ×5, first 2 shown]
	v_sub_f16_e32 v31, v24, v26
	v_add_f16_e32 v32, v28, v24
	v_add_f16_e32 v24, v24, v26
	;; [unrolled: 1-line block ×3, first 2 shown]
	v_sub_f16_e32 v35, v25, v27
	v_add_f16_e32 v36, v23, v25
	v_add_f16_e32 v25, v25, v27
	;; [unrolled: 1-line block ×4, first 2 shown]
	v_sub_f16_e32 v14, v14, v12
	v_add_f16_e32 v33, v11, v15
	v_sub_f16_e32 v15, v15, v13
	v_fma_f16 v24, v24, -0.5, v28
	v_fma_f16 v11, v34, -0.5, v11
	;; [unrolled: 1-line block ×3, first 2 shown]
	v_add_f16_e32 v12, v29, v12
	v_fma_f16 v10, v30, -0.5, v10
	v_add_f16_e32 v26, v32, v26
	v_add_f16_e32 v13, v33, v13
	;; [unrolled: 1-line block ×3, first 2 shown]
	v_fma_f16 v28, v14, s7, v24
	v_fma_f16 v14, v14, s6, v24
	;; [unrolled: 1-line block ×8, first 2 shown]
	v_add_f16_e32 v23, v12, v13
	v_add_f16_e32 v30, v26, v27
	v_sub_f16_e32 v12, v12, v13
	v_sub_f16_e32 v13, v26, v27
	v_mul_f16_e32 v26, 0x3aee, v29
	v_mul_f16_e32 v31, 0xbaee, v24
	v_mul_f16_e32 v27, -0.5, v11
	v_mul_f16_e32 v32, -0.5, v15
	v_pack_b32_f16 v12, v12, v13
	v_fma_f16 v13, v24, 0.5, v26
	v_fma_f16 v24, v29, 0.5, v31
	v_fma_f16 v15, v15, s6, v27
	v_fma_f16 v11, v11, s7, v32
	v_add_f16_e32 v26, v25, v13
	v_add_f16_e32 v29, v28, v24
	v_pack_b32_f16 v23, v23, v30
	v_add_f16_e32 v27, v10, v15
	v_add_f16_e32 v30, v14, v11
	v_sub_f16_e32 v13, v25, v13
	v_sub_f16_e32 v10, v10, v15
	v_sub_f16_e32 v15, v28, v24
	v_sub_f16_e32 v11, v14, v11
	v_pack_b32_f16 v14, v26, v29
	v_pack_b32_f16 v24, v27, v30
	;; [unrolled: 1-line block ×4, first 2 shown]
	ds_write2_b32 v18, v23, v14 offset1:70
	ds_write2_b32 v18, v24, v12 offset0:140 offset1:210
	ds_write2_b32 v22, v13, v10 offset0:24 offset1:94
	s_and_saveexec_b64 s[4:5], s[0:1]
	s_cbranch_execz .LBB0_17
; %bb.16:
	v_add_u32_e32 v10, 60, v0
	v_add_u32_e32 v11, -10, v0
	v_cndmask_b32_e64 v10, v11, v10, s[0:1]
	v_mul_i32_i24_e32 v10, 5, v10
	v_mov_b32_e32 v11, 0
	v_lshlrev_b64 v[10:11], 2, v[10:11]
	v_mov_b32_e32 v12, s9
	v_add_co_u32_e64 v14, s[0:1], s8, v10
	v_addc_co_u32_e64 v15, s[0:1], v12, v11, s[0:1]
	global_load_dwordx4 v[10:13], v[14:15], off offset:240
	global_load_dword v23, v[14:15], off offset:256
	v_add_u32_e32 v14, 0x200, v18
	s_waitcnt vmcnt(1)
	v_mul_f16_sdwa v28, v1, v12 dst_sel:DWORD dst_unused:UNUSED_PAD src0_sel:DWORD src1_sel:WORD_1
	s_waitcnt vmcnt(0)
	v_mul_f16_sdwa v29, v17, v23 dst_sel:DWORD dst_unused:UNUSED_PAD src0_sel:DWORD src1_sel:WORD_1
	v_mul_f16_sdwa v30, v7, v12 dst_sel:DWORD dst_unused:UNUSED_PAD src0_sel:DWORD src1_sel:WORD_1
	;; [unrolled: 1-line block ×9, first 2 shown]
	v_fma_f16 v7, v7, v12, -v28
	v_fma_f16 v9, v9, v23, -v29
	v_fma_f16 v1, v1, v12, v30
	v_fma_f16 v12, v17, v23, v31
	v_fma_f16 v6, v6, v11, -v15
	v_fma_f16 v8, v8, v13, -v24
	v_fma_f16 v11, v20, v11, v25
	v_fma_f16 v13, v21, v13, v26
	v_fma_f16 v5, v5, v10, -v27
	v_fma_f16 v10, v19, v10, v32
	v_add_f16_e32 v19, v7, v9
	v_add_f16_e32 v23, v1, v12
	v_sub_f16_e32 v15, v6, v8
	v_add_f16_e32 v17, v11, v13
	v_sub_f16_e32 v20, v1, v12
	v_sub_f16_e32 v21, v7, v9
	v_add_f16_e32 v24, v16, v11
	v_add_f16_e32 v1, v10, v1
	;; [unrolled: 1-line block ×5, first 2 shown]
	v_fma_f16 v5, v19, -0.5, v5
	v_fma_f16 v10, v23, -0.5, v10
	v_sub_f16_e32 v11, v11, v13
	v_fma_f16 v16, v17, -0.5, v16
	v_add_f16_e32 v13, v24, v13
	v_add_f16_e32 v1, v1, v12
	v_fma_f16 v4, v25, -0.5, v4
	v_add_f16_e32 v6, v6, v8
	v_add_f16_e32 v7, v7, v9
	v_fma_f16 v9, v20, s7, v5
	v_fma_f16 v12, v21, s6, v10
	;; [unrolled: 1-line block ×6, first 2 shown]
	v_sub_f16_e32 v16, v13, v1
	v_fma_f16 v17, v11, s7, v4
	v_fma_f16 v4, v11, s6, v4
	v_sub_f16_e32 v11, v6, v7
	v_add_f16_e32 v1, v13, v1
	v_add_f16_e32 v6, v6, v7
	v_mul_f16_e32 v7, -0.5, v12
	v_mul_f16_e32 v13, 0xbaee, v5
	v_mul_f16_e32 v20, 0x3aee, v10
	v_mul_f16_e32 v19, -0.5, v9
	v_fma_f16 v7, v9, s7, v7
	v_fma_f16 v9, v10, 0.5, v13
	v_fma_f16 v5, v5, 0.5, v20
	v_pack_b32_f16 v1, v6, v1
	v_pack_b32_f16 v6, v11, v16
	v_fma_f16 v10, v12, s6, v19
	v_sub_f16_e32 v11, v8, v7
	v_sub_f16_e32 v16, v4, v5
	v_add_f16_e32 v7, v8, v7
	v_add_f16_e32 v8, v15, v9
	;; [unrolled: 1-line block ×3, first 2 shown]
	v_sub_f16_e32 v12, v15, v9
	v_sub_f16_e32 v13, v17, v10
	v_add_f16_e32 v9, v17, v10
	v_pack_b32_f16 v4, v4, v8
	v_pack_b32_f16 v5, v9, v7
	;; [unrolled: 1-line block ×4, first 2 shown]
	ds_write2_b32 v18, v1, v4 offset0:60 offset1:130
	ds_write2_b32 v14, v5, v6 offset0:72 offset1:142
	;; [unrolled: 1-line block ×3, first 2 shown]
.LBB0_17:
	s_or_b64 exec, exec, s[4:5]
	s_waitcnt lgkmcnt(0)
	; wave barrier
	s_waitcnt lgkmcnt(0)
	ds_read_b32 v6, v18
	v_lshlrev_b32_e32 v1, 2, v0
	v_sub_u32_e32 v8, 0, v1
	v_cmp_ne_u32_e64 s[0:1], 0, v0
                                        ; implicit-def: $vgpr11
                                        ; implicit-def: $vgpr10
                                        ; implicit-def: $vgpr9
                                        ; implicit-def: $vgpr4_vgpr5
	s_and_saveexec_b64 s[4:5], s[0:1]
	s_xor_b64 s[4:5], exec, s[4:5]
	s_cbranch_execz .LBB0_19
; %bb.18:
	v_mov_b32_e32 v1, 0
	v_lshlrev_b64 v[4:5], 2, v[0:1]
	v_mov_b32_e32 v7, s9
	v_add_co_u32_e64 v4, s[0:1], s8, v4
	v_addc_co_u32_e64 v5, s[0:1], v7, v5, s[0:1]
	global_load_dword v4, v[4:5], off offset:1640
	ds_read_b32 v5, v8 offset:1680
	s_waitcnt lgkmcnt(0)
	v_add_f16_sdwa v9, v5, v6 dst_sel:DWORD dst_unused:UNUSED_PAD src0_sel:WORD_1 src1_sel:WORD_1
	v_sub_f16_e32 v10, v6, v5
	v_add_f16_e32 v7, v5, v6
	v_sub_f16_sdwa v5, v6, v5 dst_sel:DWORD dst_unused:UNUSED_PAD src0_sel:WORD_1 src1_sel:WORD_1
	v_mul_f16_e32 v6, 0.5, v9
	v_mul_f16_e32 v10, 0.5, v10
	;; [unrolled: 1-line block ×3, first 2 shown]
	s_waitcnt vmcnt(0)
	v_lshrrev_b32_e32 v9, 16, v4
	v_mul_f16_e32 v11, v9, v10
	v_fma_f16 v12, v6, v9, v5
	v_fma_f16 v5, v6, v9, -v5
	v_fma_f16 v13, v7, 0.5, v11
	v_fma_f16 v7, v7, 0.5, -v11
	v_fma_f16 v11, -v4, v10, v5
	v_fma_f16 v5, v4, v6, v13
	v_fma_f16 v9, -v4, v10, v12
	v_fma_f16 v10, -v4, v6, v7
	ds_write_b16 v18, v5
	v_mov_b32_e32 v5, v1
	v_mov_b32_e32 v4, v0
                                        ; implicit-def: $vgpr6
.LBB0_19:
	s_andn2_saveexec_b64 s[0:1], s[4:5]
	s_cbranch_execz .LBB0_21
; %bb.20:
	v_mov_b32_e32 v9, 0
	ds_read_u16 v1, v9 offset:842
	v_mov_b32_e32 v4, 0
	s_waitcnt lgkmcnt(1)
	v_add_f16_sdwa v7, v6, v6 dst_sel:DWORD dst_unused:UNUSED_PAD src0_sel:WORD_1 src1_sel:DWORD
	v_sub_f16_sdwa v10, v6, v6 dst_sel:DWORD dst_unused:UNUSED_PAD src0_sel:DWORD src1_sel:WORD_1
	v_mov_b32_e32 v5, 0
	s_waitcnt lgkmcnt(0)
	v_xor_b32_e32 v1, 0x8000, v1
	v_mov_b32_e32 v11, 0
	ds_write_b16 v18, v7
	ds_write_b16 v9, v1 offset:842
.LBB0_21:
	s_or_b64 exec, exec, s[0:1]
	s_add_u32 s0, s8, 0x668
	v_lshlrev_b64 v[4:5], 2, v[4:5]
	s_addc_u32 s1, s9, 0
	v_mov_b32_e32 v1, s1
	s_waitcnt lgkmcnt(0)
	v_add_co_u32_e64 v6, s[0:1], s0, v4
	v_addc_co_u32_e64 v7, s[0:1], v1, v5, s[0:1]
	global_load_dword v1, v[6:7], off offset:240
	global_load_dword v12, v[6:7], off offset:480
	s_mov_b32 s0, 0x5040100
	ds_write_b16 v18, v9 offset:2
	v_perm_b32 v9, v11, v10, s0
	ds_write_b32 v8, v9 offset:1680
	ds_read_b32 v10, v8 offset:1440
	ds_read_b32 v9, v18 offset:240
	s_mov_b32 s6, 0xffff
	v_cmp_gt_u32_e64 s[0:1], 30, v0
	s_waitcnt lgkmcnt(0)
	v_pk_add_f16 v11, v9, v10 neg_lo:[0,1] neg_hi:[0,1]
	v_pk_add_f16 v9, v9, v10
	v_bfi_b32 v10, s6, v11, v9
	v_bfi_b32 v9, s6, v9, v11
	v_pk_mul_f16 v10, v10, 0.5 op_sel_hi:[1,0]
	v_pk_mul_f16 v9, v9, 0.5 op_sel_hi:[1,0]
	s_waitcnt vmcnt(1)
	v_pk_fma_f16 v11, v1, v10, v9 op_sel:[1,0,0]
	v_pk_mul_f16 v13, v1, v10 op_sel_hi:[0,1]
	v_pk_fma_f16 v14, v1, v10, v9 op_sel:[1,0,0] neg_lo:[1,0,0] neg_hi:[1,0,0]
	v_pk_fma_f16 v1, v1, v10, v9 op_sel:[1,0,0] neg_lo:[0,0,1] neg_hi:[0,0,1]
	v_pk_add_f16 v9, v11, v13 op_sel:[0,1] op_sel_hi:[1,0]
	v_pk_add_f16 v10, v11, v13 op_sel:[0,1] op_sel_hi:[1,0] neg_lo:[0,1] neg_hi:[0,1]
	v_pk_add_f16 v11, v14, v13 op_sel:[0,1] op_sel_hi:[1,0] neg_lo:[0,1] neg_hi:[0,1]
	;; [unrolled: 1-line block ×3, first 2 shown]
	v_bfi_b32 v9, s6, v9, v10
	v_bfi_b32 v1, s6, v11, v1
	ds_write_b32 v18, v9 offset:240
	ds_write_b32 v8, v1 offset:1440
	ds_read_b32 v1, v18 offset:480
	ds_read_b32 v9, v8 offset:1200
	s_waitcnt lgkmcnt(0)
	v_pk_add_f16 v10, v1, v9 neg_lo:[0,1] neg_hi:[0,1]
	v_pk_add_f16 v1, v1, v9
	v_bfi_b32 v9, s6, v10, v1
	v_bfi_b32 v1, s6, v1, v10
	v_pk_mul_f16 v9, v9, 0.5 op_sel_hi:[1,0]
	v_pk_mul_f16 v1, v1, 0.5 op_sel_hi:[1,0]
	s_waitcnt vmcnt(0)
	v_pk_fma_f16 v10, v12, v9, v1 op_sel:[1,0,0]
	v_pk_mul_f16 v11, v12, v9 op_sel_hi:[0,1]
	v_pk_fma_f16 v13, v12, v9, v1 op_sel:[1,0,0] neg_lo:[1,0,0] neg_hi:[1,0,0]
	v_pk_fma_f16 v1, v12, v9, v1 op_sel:[1,0,0] neg_lo:[0,0,1] neg_hi:[0,0,1]
	v_pk_add_f16 v9, v10, v11 op_sel:[0,1] op_sel_hi:[1,0]
	v_pk_add_f16 v10, v10, v11 op_sel:[0,1] op_sel_hi:[1,0] neg_lo:[0,1] neg_hi:[0,1]
	v_pk_add_f16 v12, v13, v11 op_sel:[0,1] op_sel_hi:[1,0] neg_lo:[0,1] neg_hi:[0,1]
	;; [unrolled: 1-line block ×3, first 2 shown]
	v_bfi_b32 v9, s6, v9, v10
	v_bfi_b32 v1, s6, v12, v1
	ds_write_b32 v18, v9 offset:480
	ds_write_b32 v8, v1 offset:1200
	s_and_saveexec_b64 s[4:5], s[0:1]
	s_cbranch_execz .LBB0_23
; %bb.22:
	global_load_dword v1, v[6:7], off offset:720
	ds_read_b32 v6, v18 offset:720
	ds_read_b32 v7, v8 offset:960
	s_waitcnt lgkmcnt(0)
	v_pk_add_f16 v9, v6, v7 neg_lo:[0,1] neg_hi:[0,1]
	v_pk_add_f16 v6, v6, v7
	v_bfi_b32 v7, s6, v9, v6
	v_bfi_b32 v6, s6, v6, v9
	v_pk_mul_f16 v7, v7, 0.5 op_sel_hi:[1,0]
	v_pk_mul_f16 v6, v6, 0.5 op_sel_hi:[1,0]
	s_waitcnt vmcnt(0)
	v_pk_fma_f16 v9, v1, v7, v6 op_sel:[1,0,0]
	v_pk_mul_f16 v10, v1, v7 op_sel_hi:[0,1]
	v_pk_fma_f16 v11, v1, v7, v6 op_sel:[1,0,0] neg_lo:[1,0,0] neg_hi:[1,0,0]
	v_pk_fma_f16 v1, v1, v7, v6 op_sel:[1,0,0] neg_lo:[0,0,1] neg_hi:[0,0,1]
	v_pk_add_f16 v6, v9, v10 op_sel:[0,1] op_sel_hi:[1,0]
	v_pk_add_f16 v7, v9, v10 op_sel:[0,1] op_sel_hi:[1,0] neg_lo:[0,1] neg_hi:[0,1]
	v_pk_add_f16 v9, v11, v10 op_sel:[0,1] op_sel_hi:[1,0] neg_lo:[0,1] neg_hi:[0,1]
	;; [unrolled: 1-line block ×3, first 2 shown]
	v_bfi_b32 v6, s6, v6, v7
	v_bfi_b32 v1, s6, v9, v1
	ds_write_b32 v18, v6 offset:720
	ds_write_b32 v8, v1 offset:960
.LBB0_23:
	s_or_b64 exec, exec, s[4:5]
	s_waitcnt lgkmcnt(0)
	; wave barrier
	s_waitcnt lgkmcnt(0)
	s_and_saveexec_b64 s[0:1], vcc
	s_cbranch_execz .LBB0_26
; %bb.24:
	ds_read2_b32 v[6:7], v18 offset1:60
	v_mov_b32_e32 v8, s3
	v_add_co_u32_e32 v1, vcc, s2, v2
	v_addc_co_u32_e32 v2, vcc, v8, v3, vcc
	v_add_co_u32_e32 v3, vcc, v1, v4
	v_addc_co_u32_e32 v4, vcc, v2, v5, vcc
	s_waitcnt lgkmcnt(0)
	global_store_dword v[3:4], v6, off
	ds_read2_b32 v[5:6], v18 offset0:120 offset1:180
	v_add_u32_e32 v8, 0x200, v18
	ds_read2_b32 v[8:9], v8 offset0:112 offset1:172
	global_store_dword v[3:4], v7, off offset:240
	ds_read_b32 v7, v18 offset:1440
	v_cmp_eq_u32_e32 vcc, 59, v0
	s_waitcnt lgkmcnt(2)
	global_store_dword v[3:4], v5, off offset:480
	global_store_dword v[3:4], v6, off offset:720
	s_waitcnt lgkmcnt(1)
	global_store_dword v[3:4], v8, off offset:960
	global_store_dword v[3:4], v9, off offset:1200
	s_waitcnt lgkmcnt(0)
	global_store_dword v[3:4], v7, off offset:1440
	s_and_b64 exec, exec, vcc
	s_cbranch_execz .LBB0_26
; %bb.25:
	v_mov_b32_e32 v0, 0
	ds_read_b32 v0, v0 offset:1680
	s_waitcnt lgkmcnt(0)
	global_store_dword v[1:2], v0, off offset:1680
.LBB0_26:
	s_endpgm
	.section	.rodata,"a",@progbits
	.p2align	6, 0x0
	.amdhsa_kernel fft_rtc_fwd_len420_factors_10_7_6_wgs_60_tpt_60_half_ip_CI_unitstride_sbrr_R2C_dirReg
		.amdhsa_group_segment_fixed_size 0
		.amdhsa_private_segment_fixed_size 0
		.amdhsa_kernarg_size 88
		.amdhsa_user_sgpr_count 6
		.amdhsa_user_sgpr_private_segment_buffer 1
		.amdhsa_user_sgpr_dispatch_ptr 0
		.amdhsa_user_sgpr_queue_ptr 0
		.amdhsa_user_sgpr_kernarg_segment_ptr 1
		.amdhsa_user_sgpr_dispatch_id 0
		.amdhsa_user_sgpr_flat_scratch_init 0
		.amdhsa_user_sgpr_private_segment_size 0
		.amdhsa_uses_dynamic_stack 0
		.amdhsa_system_sgpr_private_segment_wavefront_offset 0
		.amdhsa_system_sgpr_workgroup_id_x 1
		.amdhsa_system_sgpr_workgroup_id_y 0
		.amdhsa_system_sgpr_workgroup_id_z 0
		.amdhsa_system_sgpr_workgroup_info 0
		.amdhsa_system_vgpr_workitem_id 0
		.amdhsa_next_free_vgpr 50
		.amdhsa_next_free_sgpr 22
		.amdhsa_reserve_vcc 1
		.amdhsa_reserve_flat_scratch 0
		.amdhsa_float_round_mode_32 0
		.amdhsa_float_round_mode_16_64 0
		.amdhsa_float_denorm_mode_32 3
		.amdhsa_float_denorm_mode_16_64 3
		.amdhsa_dx10_clamp 1
		.amdhsa_ieee_mode 1
		.amdhsa_fp16_overflow 0
		.amdhsa_exception_fp_ieee_invalid_op 0
		.amdhsa_exception_fp_denorm_src 0
		.amdhsa_exception_fp_ieee_div_zero 0
		.amdhsa_exception_fp_ieee_overflow 0
		.amdhsa_exception_fp_ieee_underflow 0
		.amdhsa_exception_fp_ieee_inexact 0
		.amdhsa_exception_int_div_zero 0
	.end_amdhsa_kernel
	.text
.Lfunc_end0:
	.size	fft_rtc_fwd_len420_factors_10_7_6_wgs_60_tpt_60_half_ip_CI_unitstride_sbrr_R2C_dirReg, .Lfunc_end0-fft_rtc_fwd_len420_factors_10_7_6_wgs_60_tpt_60_half_ip_CI_unitstride_sbrr_R2C_dirReg
                                        ; -- End function
	.section	.AMDGPU.csdata,"",@progbits
; Kernel info:
; codeLenInByte = 5908
; NumSgprs: 26
; NumVgprs: 50
; ScratchSize: 0
; MemoryBound: 0
; FloatMode: 240
; IeeeMode: 1
; LDSByteSize: 0 bytes/workgroup (compile time only)
; SGPRBlocks: 3
; VGPRBlocks: 12
; NumSGPRsForWavesPerEU: 26
; NumVGPRsForWavesPerEU: 50
; Occupancy: 4
; WaveLimiterHint : 1
; COMPUTE_PGM_RSRC2:SCRATCH_EN: 0
; COMPUTE_PGM_RSRC2:USER_SGPR: 6
; COMPUTE_PGM_RSRC2:TRAP_HANDLER: 0
; COMPUTE_PGM_RSRC2:TGID_X_EN: 1
; COMPUTE_PGM_RSRC2:TGID_Y_EN: 0
; COMPUTE_PGM_RSRC2:TGID_Z_EN: 0
; COMPUTE_PGM_RSRC2:TIDIG_COMP_CNT: 0
	.type	__hip_cuid_5709e43af7226d01,@object ; @__hip_cuid_5709e43af7226d01
	.section	.bss,"aw",@nobits
	.globl	__hip_cuid_5709e43af7226d01
__hip_cuid_5709e43af7226d01:
	.byte	0                               ; 0x0
	.size	__hip_cuid_5709e43af7226d01, 1

	.ident	"AMD clang version 19.0.0git (https://github.com/RadeonOpenCompute/llvm-project roc-6.4.0 25133 c7fe45cf4b819c5991fe208aaa96edf142730f1d)"
	.section	".note.GNU-stack","",@progbits
	.addrsig
	.addrsig_sym __hip_cuid_5709e43af7226d01
	.amdgpu_metadata
---
amdhsa.kernels:
  - .args:
      - .actual_access:  read_only
        .address_space:  global
        .offset:         0
        .size:           8
        .value_kind:     global_buffer
      - .offset:         8
        .size:           8
        .value_kind:     by_value
      - .actual_access:  read_only
        .address_space:  global
        .offset:         16
        .size:           8
        .value_kind:     global_buffer
      - .actual_access:  read_only
        .address_space:  global
        .offset:         24
        .size:           8
        .value_kind:     global_buffer
      - .offset:         32
        .size:           8
        .value_kind:     by_value
      - .actual_access:  read_only
        .address_space:  global
        .offset:         40
        .size:           8
        .value_kind:     global_buffer
      - .actual_access:  read_only
        .address_space:  global
        .offset:         48
        .size:           8
        .value_kind:     global_buffer
      - .offset:         56
        .size:           4
        .value_kind:     by_value
      - .actual_access:  read_only
        .address_space:  global
        .offset:         64
        .size:           8
        .value_kind:     global_buffer
      - .actual_access:  read_only
        .address_space:  global
        .offset:         72
        .size:           8
        .value_kind:     global_buffer
      - .address_space:  global
        .offset:         80
        .size:           8
        .value_kind:     global_buffer
    .group_segment_fixed_size: 0
    .kernarg_segment_align: 8
    .kernarg_segment_size: 88
    .language:       OpenCL C
    .language_version:
      - 2
      - 0
    .max_flat_workgroup_size: 60
    .name:           fft_rtc_fwd_len420_factors_10_7_6_wgs_60_tpt_60_half_ip_CI_unitstride_sbrr_R2C_dirReg
    .private_segment_fixed_size: 0
    .sgpr_count:     26
    .sgpr_spill_count: 0
    .symbol:         fft_rtc_fwd_len420_factors_10_7_6_wgs_60_tpt_60_half_ip_CI_unitstride_sbrr_R2C_dirReg.kd
    .uniform_work_group_size: 1
    .uses_dynamic_stack: false
    .vgpr_count:     50
    .vgpr_spill_count: 0
    .wavefront_size: 64
amdhsa.target:   amdgcn-amd-amdhsa--gfx906
amdhsa.version:
  - 1
  - 2
...

	.end_amdgpu_metadata
